;; amdgpu-corpus repo=ROCm/rocFFT kind=compiled arch=gfx906 opt=O3
	.text
	.amdgcn_target "amdgcn-amd-amdhsa--gfx906"
	.amdhsa_code_object_version 6
	.protected	fft_rtc_fwd_len910_factors_13_2_7_5_wgs_182_tpt_91_sp_ip_CI_unitstride_sbrr_dirReg ; -- Begin function fft_rtc_fwd_len910_factors_13_2_7_5_wgs_182_tpt_91_sp_ip_CI_unitstride_sbrr_dirReg
	.globl	fft_rtc_fwd_len910_factors_13_2_7_5_wgs_182_tpt_91_sp_ip_CI_unitstride_sbrr_dirReg
	.p2align	8
	.type	fft_rtc_fwd_len910_factors_13_2_7_5_wgs_182_tpt_91_sp_ip_CI_unitstride_sbrr_dirReg,@function
fft_rtc_fwd_len910_factors_13_2_7_5_wgs_182_tpt_91_sp_ip_CI_unitstride_sbrr_dirReg: ; @fft_rtc_fwd_len910_factors_13_2_7_5_wgs_182_tpt_91_sp_ip_CI_unitstride_sbrr_dirReg
; %bb.0:
	s_load_dwordx2 s[12:13], s[4:5], 0x50
	s_load_dwordx4 s[8:11], s[4:5], 0x0
	s_load_dwordx2 s[2:3], s[4:5], 0x18
	v_mul_u32_u24_e32 v1, 0x2d1, v0
	v_lshrrev_b32_e32 v36, 16, v1
	v_mov_b32_e32 v3, 0
	s_waitcnt lgkmcnt(0)
	v_cmp_lt_u64_e64 s[0:1], s[10:11], 2
	v_mov_b32_e32 v1, 0
	v_lshl_add_u32 v5, s6, 1, v36
	v_mov_b32_e32 v6, v3
	s_and_b64 vcc, exec, s[0:1]
	v_mov_b32_e32 v2, 0
	s_cbranch_vccnz .LBB0_8
; %bb.1:
	s_load_dwordx2 s[0:1], s[4:5], 0x10
	s_add_u32 s6, s2, 8
	s_addc_u32 s7, s3, 0
	v_mov_b32_e32 v1, 0
	v_mov_b32_e32 v2, 0
	s_waitcnt lgkmcnt(0)
	s_add_u32 s14, s0, 8
	s_addc_u32 s15, s1, 0
	s_mov_b64 s[16:17], 1
.LBB0_2:                                ; =>This Inner Loop Header: Depth=1
	s_load_dwordx2 s[18:19], s[14:15], 0x0
                                        ; implicit-def: $vgpr7_vgpr8
	s_waitcnt lgkmcnt(0)
	v_or_b32_e32 v4, s19, v6
	v_cmp_ne_u64_e32 vcc, 0, v[3:4]
	s_and_saveexec_b64 s[0:1], vcc
	s_xor_b64 s[20:21], exec, s[0:1]
	s_cbranch_execz .LBB0_4
; %bb.3:                                ;   in Loop: Header=BB0_2 Depth=1
	v_cvt_f32_u32_e32 v4, s18
	v_cvt_f32_u32_e32 v7, s19
	s_sub_u32 s0, 0, s18
	s_subb_u32 s1, 0, s19
	v_mac_f32_e32 v4, 0x4f800000, v7
	v_rcp_f32_e32 v4, v4
	v_mul_f32_e32 v4, 0x5f7ffffc, v4
	v_mul_f32_e32 v7, 0x2f800000, v4
	v_trunc_f32_e32 v7, v7
	v_mac_f32_e32 v4, 0xcf800000, v7
	v_cvt_u32_f32_e32 v7, v7
	v_cvt_u32_f32_e32 v4, v4
	v_mul_lo_u32 v8, s0, v7
	v_mul_hi_u32 v9, s0, v4
	v_mul_lo_u32 v11, s1, v4
	v_mul_lo_u32 v10, s0, v4
	v_add_u32_e32 v8, v9, v8
	v_add_u32_e32 v8, v8, v11
	v_mul_hi_u32 v9, v4, v10
	v_mul_lo_u32 v11, v4, v8
	v_mul_hi_u32 v13, v4, v8
	v_mul_hi_u32 v12, v7, v10
	v_mul_lo_u32 v10, v7, v10
	v_mul_hi_u32 v14, v7, v8
	v_add_co_u32_e32 v9, vcc, v9, v11
	v_addc_co_u32_e32 v11, vcc, 0, v13, vcc
	v_mul_lo_u32 v8, v7, v8
	v_add_co_u32_e32 v9, vcc, v9, v10
	v_addc_co_u32_e32 v9, vcc, v11, v12, vcc
	v_addc_co_u32_e32 v10, vcc, 0, v14, vcc
	v_add_co_u32_e32 v8, vcc, v9, v8
	v_addc_co_u32_e32 v9, vcc, 0, v10, vcc
	v_add_co_u32_e32 v4, vcc, v4, v8
	v_addc_co_u32_e32 v7, vcc, v7, v9, vcc
	v_mul_lo_u32 v8, s0, v7
	v_mul_hi_u32 v9, s0, v4
	v_mul_lo_u32 v10, s1, v4
	v_mul_lo_u32 v11, s0, v4
	v_add_u32_e32 v8, v9, v8
	v_add_u32_e32 v8, v8, v10
	v_mul_lo_u32 v12, v4, v8
	v_mul_hi_u32 v13, v4, v11
	v_mul_hi_u32 v14, v4, v8
	;; [unrolled: 1-line block ×3, first 2 shown]
	v_mul_lo_u32 v11, v7, v11
	v_mul_hi_u32 v9, v7, v8
	v_add_co_u32_e32 v12, vcc, v13, v12
	v_addc_co_u32_e32 v13, vcc, 0, v14, vcc
	v_mul_lo_u32 v8, v7, v8
	v_add_co_u32_e32 v11, vcc, v12, v11
	v_addc_co_u32_e32 v10, vcc, v13, v10, vcc
	v_addc_co_u32_e32 v9, vcc, 0, v9, vcc
	v_add_co_u32_e32 v8, vcc, v10, v8
	v_addc_co_u32_e32 v9, vcc, 0, v9, vcc
	v_add_co_u32_e32 v4, vcc, v4, v8
	v_addc_co_u32_e32 v9, vcc, v7, v9, vcc
	v_mad_u64_u32 v[7:8], s[0:1], v5, v9, 0
	v_mul_hi_u32 v10, v5, v4
	v_add_co_u32_e32 v11, vcc, v10, v7
	v_addc_co_u32_e32 v12, vcc, 0, v8, vcc
	v_mad_u64_u32 v[7:8], s[0:1], v6, v4, 0
	v_mad_u64_u32 v[9:10], s[0:1], v6, v9, 0
	v_add_co_u32_e32 v4, vcc, v11, v7
	v_addc_co_u32_e32 v4, vcc, v12, v8, vcc
	v_addc_co_u32_e32 v7, vcc, 0, v10, vcc
	v_add_co_u32_e32 v4, vcc, v4, v9
	v_addc_co_u32_e32 v9, vcc, 0, v7, vcc
	v_mul_lo_u32 v10, s19, v4
	v_mul_lo_u32 v11, s18, v9
	v_mad_u64_u32 v[7:8], s[0:1], s18, v4, 0
	v_add3_u32 v8, v8, v11, v10
	v_sub_u32_e32 v10, v6, v8
	v_mov_b32_e32 v11, s19
	v_sub_co_u32_e32 v7, vcc, v5, v7
	v_subb_co_u32_e64 v10, s[0:1], v10, v11, vcc
	v_subrev_co_u32_e64 v11, s[0:1], s18, v7
	v_subbrev_co_u32_e64 v10, s[0:1], 0, v10, s[0:1]
	v_cmp_le_u32_e64 s[0:1], s19, v10
	v_cndmask_b32_e64 v12, 0, -1, s[0:1]
	v_cmp_le_u32_e64 s[0:1], s18, v11
	v_cndmask_b32_e64 v11, 0, -1, s[0:1]
	v_cmp_eq_u32_e64 s[0:1], s19, v10
	v_cndmask_b32_e64 v10, v12, v11, s[0:1]
	v_add_co_u32_e64 v11, s[0:1], 2, v4
	v_addc_co_u32_e64 v12, s[0:1], 0, v9, s[0:1]
	v_add_co_u32_e64 v13, s[0:1], 1, v4
	v_addc_co_u32_e64 v14, s[0:1], 0, v9, s[0:1]
	v_subb_co_u32_e32 v8, vcc, v6, v8, vcc
	v_cmp_ne_u32_e64 s[0:1], 0, v10
	v_cmp_le_u32_e32 vcc, s19, v8
	v_cndmask_b32_e64 v10, v14, v12, s[0:1]
	v_cndmask_b32_e64 v12, 0, -1, vcc
	v_cmp_le_u32_e32 vcc, s18, v7
	v_cndmask_b32_e64 v7, 0, -1, vcc
	v_cmp_eq_u32_e32 vcc, s19, v8
	v_cndmask_b32_e32 v7, v12, v7, vcc
	v_cmp_ne_u32_e32 vcc, 0, v7
	v_cndmask_b32_e64 v7, v13, v11, s[0:1]
	v_cndmask_b32_e32 v8, v9, v10, vcc
	v_cndmask_b32_e32 v7, v4, v7, vcc
.LBB0_4:                                ;   in Loop: Header=BB0_2 Depth=1
	s_andn2_saveexec_b64 s[0:1], s[20:21]
	s_cbranch_execz .LBB0_6
; %bb.5:                                ;   in Loop: Header=BB0_2 Depth=1
	v_cvt_f32_u32_e32 v4, s18
	s_sub_i32 s20, 0, s18
	v_rcp_iflag_f32_e32 v4, v4
	v_mul_f32_e32 v4, 0x4f7ffffe, v4
	v_cvt_u32_f32_e32 v4, v4
	v_mul_lo_u32 v7, s20, v4
	v_mul_hi_u32 v7, v4, v7
	v_add_u32_e32 v4, v4, v7
	v_mul_hi_u32 v4, v5, v4
	v_mul_lo_u32 v7, v4, s18
	v_add_u32_e32 v8, 1, v4
	v_sub_u32_e32 v7, v5, v7
	v_subrev_u32_e32 v9, s18, v7
	v_cmp_le_u32_e32 vcc, s18, v7
	v_cndmask_b32_e32 v7, v7, v9, vcc
	v_cndmask_b32_e32 v4, v4, v8, vcc
	v_add_u32_e32 v8, 1, v4
	v_cmp_le_u32_e32 vcc, s18, v7
	v_cndmask_b32_e32 v7, v4, v8, vcc
	v_mov_b32_e32 v8, v3
.LBB0_6:                                ;   in Loop: Header=BB0_2 Depth=1
	s_or_b64 exec, exec, s[0:1]
	v_mul_lo_u32 v4, v8, s18
	v_mul_lo_u32 v11, v7, s19
	v_mad_u64_u32 v[9:10], s[0:1], v7, s18, 0
	s_load_dwordx2 s[0:1], s[6:7], 0x0
	s_add_u32 s16, s16, 1
	v_add3_u32 v4, v10, v11, v4
	v_sub_co_u32_e32 v5, vcc, v5, v9
	v_subb_co_u32_e32 v4, vcc, v6, v4, vcc
	s_waitcnt lgkmcnt(0)
	v_mul_lo_u32 v4, s0, v4
	v_mul_lo_u32 v6, s1, v5
	v_mad_u64_u32 v[1:2], s[0:1], s0, v5, v[1:2]
	s_addc_u32 s17, s17, 0
	s_add_u32 s6, s6, 8
	v_add3_u32 v2, v6, v2, v4
	v_mov_b32_e32 v4, s10
	v_mov_b32_e32 v5, s11
	s_addc_u32 s7, s7, 0
	v_cmp_ge_u64_e32 vcc, s[16:17], v[4:5]
	s_add_u32 s14, s14, 8
	s_addc_u32 s15, s15, 0
	s_cbranch_vccnz .LBB0_9
; %bb.7:                                ;   in Loop: Header=BB0_2 Depth=1
	v_mov_b32_e32 v5, v7
	v_mov_b32_e32 v6, v8
	s_branch .LBB0_2
.LBB0_8:
	v_mov_b32_e32 v8, v6
	v_mov_b32_e32 v7, v5
.LBB0_9:
	s_lshl_b64 s[0:1], s[10:11], 3
	s_add_u32 s0, s2, s0
	s_addc_u32 s1, s3, s1
	s_load_dwordx2 s[2:3], s[0:1], 0x0
	s_load_dwordx2 s[6:7], s[4:5], 0x20
                                        ; implicit-def: $vgpr9
                                        ; implicit-def: $vgpr11
                                        ; implicit-def: $vgpr13
                                        ; implicit-def: $vgpr15
                                        ; implicit-def: $vgpr17
                                        ; implicit-def: $vgpr19
                                        ; implicit-def: $vgpr21
                                        ; implicit-def: $vgpr23
                                        ; implicit-def: $vgpr29
                                        ; implicit-def: $vgpr31
                                        ; implicit-def: $vgpr35
                                        ; implicit-def: $vgpr33
	s_waitcnt lgkmcnt(0)
	v_mad_u64_u32 v[1:2], s[0:1], s2, v7, v[1:2]
	s_mov_b32 s0, 0x2d02d03
	v_mul_lo_u32 v3, s2, v8
	v_mul_lo_u32 v4, s3, v7
	v_mul_hi_u32 v5, v0, s0
	v_cmp_gt_u64_e32 vcc, s[6:7], v[7:8]
	s_movk_i32 s0, 0x46
	v_add3_u32 v2, v4, v2, v3
	v_mul_u32_u24_e32 v3, 0x5b, v5
	v_sub_u32_e32 v24, v0, v3
	v_cmp_gt_u32_e64 s[0:1], s0, v24
	v_lshlrev_b64 v[26:27], 3, v[1:2]
	s_and_b64 s[2:3], vcc, s[0:1]
	v_mov_b32_e32 v3, 0
	v_mov_b32_e32 v2, 0
	s_and_saveexec_b64 s[4:5], s[2:3]
	s_cbranch_execz .LBB0_11
; %bb.10:
	v_mov_b32_e32 v25, 0
	v_mov_b32_e32 v0, s13
	v_add_co_u32_e64 v2, s[2:3], s12, v26
	v_addc_co_u32_e64 v3, s[2:3], v0, v27, s[2:3]
	v_lshlrev_b64 v[0:1], 3, v[24:25]
	v_add_co_u32_e64 v0, s[2:3], v2, v0
	v_addc_co_u32_e64 v1, s[2:3], v3, v1, s[2:3]
	s_movk_i32 s2, 0x1000
	v_add_co_u32_e64 v4, s[2:3], s2, v0
	global_load_dwordx2 v[2:3], v[0:1], off
	global_load_dwordx2 v[8:9], v[0:1], off offset:560
	global_load_dwordx2 v[10:11], v[0:1], off offset:1120
	;; [unrolled: 1-line block ×3, first 2 shown]
	v_addc_co_u32_e64 v5, s[2:3], 0, v1, s[2:3]
	global_load_dwordx2 v[14:15], v[0:1], off offset:2240
	global_load_dwordx2 v[16:17], v[0:1], off offset:2800
	;; [unrolled: 1-line block ×9, first 2 shown]
.LBB0_11:
	s_or_b64 exec, exec, s[4:5]
	s_waitcnt vmcnt(0)
	v_add_f32_e32 v45, v8, v34
	v_mul_f32_e32 v37, 0x3f62ad3f, v45
	v_add_f32_e32 v47, v10, v30
	v_sub_f32_e32 v51, v9, v35
	v_mov_b32_e32 v0, v37
	v_mul_f32_e32 v38, 0x3f116cb1, v47
	v_fmac_f32_e32 v0, 0xbeedf032, v51
	v_sub_f32_e32 v50, v11, v31
	v_mov_b32_e32 v1, v38
	v_sub_f32_e32 v91, v8, v34
	v_add_f32_e32 v0, v2, v0
	v_fmac_f32_e32 v1, 0xbf52af12, v50
	s_mov_b32 s5, 0x3f62ad3f
	v_add_f32_e32 v58, v9, v35
	v_mul_f32_e32 v39, 0xbeedf032, v91
	v_sub_f32_e32 v92, v10, v30
	v_add_f32_e32 v0, v1, v0
	v_fma_f32 v1, v58, s5, -v39
	s_mov_b32 s4, 0x3f116cb1
	v_add_f32_e32 v52, v11, v31
	v_mul_f32_e32 v40, 0xbf52af12, v92
	v_add_f32_e32 v54, v12, v32
	v_add_f32_e32 v1, v3, v1
	v_fma_f32 v4, v52, s4, -v40
	v_mul_f32_e32 v41, 0x3df6dbef, v54
	v_add_f32_e32 v1, v4, v1
	v_sub_f32_e32 v55, v13, v33
	v_mov_b32_e32 v4, v41
	v_sub_f32_e32 v93, v12, v32
	v_fmac_f32_e32 v4, 0xbf7e222b, v55
	s_mov_b32 s6, 0x3df6dbef
	v_add_f32_e32 v56, v13, v33
	v_mul_f32_e32 v42, 0xbf7e222b, v93
	v_add_f32_e32 v59, v14, v28
	v_add_f32_e32 v0, v0, v4
	v_fma_f32 v4, v56, s6, -v42
	v_mul_f32_e32 v43, 0xbeb58ec6, v59
	v_add_f32_e32 v1, v1, v4
	v_sub_f32_e32 v57, v15, v29
	v_mov_b32_e32 v4, v43
	v_sub_f32_e32 v94, v14, v28
	v_fmac_f32_e32 v4, 0xbf6f5d39, v57
	;; [unrolled: 12-line block ×3, first 2 shown]
	s_mov_b32 s11, 0xbf3f9e67
	v_add_f32_e32 v64, v17, v23
	v_mul_f32_e32 v48, 0xbf29c268, v95
	v_add_f32_e32 v77, v18, v20
	v_add_f32_e32 v0, v4, v0
	v_fma_f32 v4, v64, s11, -v48
	v_mul_f32_e32 v49, 0xbf788fa5, v77
	v_add_f32_e32 v1, v4, v1
	v_sub_f32_e32 v71, v19, v21
	v_mov_b32_e32 v4, v49
	v_sub_f32_e32 v96, v18, v20
	s_mov_b32 s10, 0xbf788fa5
	v_fmac_f32_e32 v4, 0xbe750f2a, v71
	v_add_f32_e32 v72, v19, v21
	v_mul_f32_e32 v53, 0xbe750f2a, v96
	v_mul_f32_e32 v61, 0x3f116cb1, v45
	v_fma_f32 v5, v72, s10, -v53
	v_add_f32_e32 v0, v4, v0
	v_mov_b32_e32 v4, v61
	v_mul_f32_e32 v62, 0xbeb58ec6, v47
	v_add_f32_e32 v1, v5, v1
	v_fmac_f32_e32 v4, 0xbf52af12, v51
	v_mov_b32_e32 v5, v62
	v_add_f32_e32 v4, v2, v4
	v_fmac_f32_e32 v5, 0xbf6f5d39, v50
	v_mul_f32_e32 v68, 0xbf52af12, v91
	v_add_f32_e32 v4, v5, v4
	v_fma_f32 v5, v58, s4, -v68
	v_mul_f32_e32 v70, 0xbf6f5d39, v92
	v_add_f32_e32 v5, v3, v5
	v_fma_f32 v6, v52, s7, -v70
	v_mul_f32_e32 v65, 0xbf788fa5, v54
	v_add_f32_e32 v5, v6, v5
	v_mov_b32_e32 v6, v65
	v_fmac_f32_e32 v6, 0xbe750f2a, v55
	v_mul_f32_e32 v74, 0xbe750f2a, v93
	v_add_f32_e32 v4, v4, v6
	v_fma_f32 v6, v56, s10, -v74
	v_mul_f32_e32 v66, 0xbf3f9e67, v59
	v_add_f32_e32 v5, v5, v6
	v_mov_b32_e32 v6, v66
	v_fmac_f32_e32 v6, 0x3f29c268, v57
	;; [unrolled: 7-line block ×4, first 2 shown]
	v_mul_f32_e32 v78, 0x3eedf032, v96
	v_mul_f32_e32 v79, 0x3df6dbef, v45
	v_fma_f32 v7, v72, s5, -v78
	v_add_f32_e32 v6, v6, v4
	v_mov_b32_e32 v4, v79
	v_mul_f32_e32 v80, 0xbf788fa5, v47
	v_add_f32_e32 v7, v7, v5
	v_fmac_f32_e32 v4, 0xbf7e222b, v51
	v_mov_b32_e32 v5, v80
	v_add_f32_e32 v4, v2, v4
	v_fmac_f32_e32 v5, 0xbe750f2a, v50
	v_mul_f32_e32 v81, 0xbeb58ec6, v54
	v_add_f32_e32 v4, v5, v4
	v_mov_b32_e32 v5, v81
	v_fmac_f32_e32 v5, 0x3f6f5d39, v55
	v_mul_f32_e32 v82, 0x3f62ad3f, v59
	v_add_f32_e32 v4, v4, v5
	v_mov_b32_e32 v5, v82
	;; [unrolled: 4-line block ×4, first 2 shown]
	v_fmac_f32_e32 v5, 0xbf29c268, v71
	v_mul_f32_e32 v89, 0xbf7e222b, v91
	v_add_f32_e32 v4, v5, v4
	v_fma_f32 v5, v58, s6, -v89
	v_mul_f32_e32 v90, 0xbe750f2a, v92
	v_add_f32_e32 v5, v3, v5
	v_fma_f32 v25, v52, s10, -v90
	;; [unrolled: 3-line block ×6, first 2 shown]
	v_add_f32_e32 v5, v25, v5
	v_and_b32_e32 v25, 1, v36
	v_mov_b32_e32 v36, 0x38e
	v_cmp_eq_u32_e64 s[2:3], 1, v25
	v_cndmask_b32_e64 v25, 0, v36, s[2:3]
	v_lshlrev_b32_e32 v25, 3, v25
	s_and_saveexec_b64 s[2:3], s[0:1]
	s_cbranch_execz .LBB0_13
; %bb.12:
	v_mul_f32_e32 v36, 0xbf6f5d39, v91
	v_fma_f32 v97, v58, s7, -v36
	v_mul_f32_e32 v101, 0x3f29c268, v92
	v_add_f32_e32 v97, v3, v97
	v_fma_f32 v98, v52, s11, -v101
	v_mul_f32_e32 v102, 0x3eedf032, v93
	v_add_f32_e32 v97, v98, v97
	;; [unrolled: 3-line block ×6, first 2 shown]
	v_mov_b32_e32 v97, v106
	v_mul_f32_e32 v107, 0x3f29c268, v50
	v_fmac_f32_e32 v97, 0xbeb58ec6, v45
	v_mov_b32_e32 v99, v107
	v_add_f32_e32 v97, v2, v97
	v_fmac_f32_e32 v99, 0xbf3f9e67, v47
	v_mul_f32_e32 v108, 0x3eedf032, v55
	v_add_f32_e32 v97, v99, v97
	v_mov_b32_e32 v99, v108
	v_fmac_f32_e32 v99, 0x3f62ad3f, v54
	v_mul_f32_e32 v109, 0xbf7e222b, v57
	v_add_f32_e32 v97, v97, v99
	v_mov_b32_e32 v99, v109
	v_fmac_f32_e32 v99, 0x3df6dbef, v59
	v_mul_f32_e32 v110, 0x3e750f2a, v63
	v_add_f32_e32 v97, v99, v97
	v_mov_b32_e32 v99, v110
	v_fmac_f32_e32 v99, 0xbf788fa5, v67
	v_mul_f32_e32 v111, 0x3f52af12, v71
	v_add_f32_e32 v97, v99, v97
	v_mov_b32_e32 v99, v111
	v_fmac_f32_e32 v99, 0x3f116cb1, v77
	v_mul_f32_e32 v112, 0xbf29c268, v91
	v_add_f32_e32 v97, v99, v97
	v_fma_f32 v99, v58, s11, -v112
	v_mul_f32_e32 v113, 0x3f7e222b, v92
	v_add_f32_e32 v99, v3, v99
	v_fma_f32 v100, v52, s6, -v113
	;; [unrolled: 3-line block ×5, first 2 shown]
	v_mul_f32_e32 v117, 0xbf29c268, v51
	v_add_f32_e32 v99, v100, v99
	v_mov_b32_e32 v100, v117
	v_mul_f32_e32 v118, 0x3f7e222b, v50
	v_fmac_f32_e32 v100, 0xbf3f9e67, v45
	v_mov_b32_e32 v119, v118
	v_add_f32_e32 v100, v2, v100
	v_fmac_f32_e32 v119, 0x3df6dbef, v47
	v_add_f32_e32 v100, v119, v100
	v_mul_f32_e32 v119, 0xbf52af12, v55
	v_mov_b32_e32 v120, v119
	v_fmac_f32_e32 v120, 0x3f116cb1, v54
	v_add_f32_e32 v100, v100, v120
	v_mul_f32_e32 v120, 0x3e750f2a, v57
	v_mov_b32_e32 v121, v120
	;; [unrolled: 4-line block ×3, first 2 shown]
	v_fmac_f32_e32 v122, 0x3f62ad3f, v67
	v_mul_f32_e32 v123, 0xbf6f5d39, v96
	v_add_f32_e32 v122, v122, v100
	v_fma_f32 v100, v72, s7, -v123
	v_mul_f32_e32 v124, 0xbf6f5d39, v71
	v_add_f32_e32 v100, v100, v99
	v_mov_b32_e32 v99, v124
	v_fmac_f32_e32 v99, 0xbeb58ec6, v77
	v_add_f32_e32 v99, v99, v122
	v_mul_f32_e32 v122, 0xbe750f2a, v91
	v_fma_f32 v91, v58, s10, -v122
	v_mul_f32_e32 v125, 0x3eedf032, v92
	v_add_f32_e32 v91, v3, v91
	v_fma_f32 v92, v52, s5, -v125
	v_mul_f32_e32 v93, 0xbf29c268, v93
	v_add_f32_e32 v91, v92, v91
	;; [unrolled: 3-line block ×5, first 2 shown]
	v_mov_b32_e32 v92, v126
	v_mul_f32_e32 v127, 0x3eedf032, v50
	v_fmac_f32_e32 v92, 0xbf788fa5, v45
	v_mov_b32_e32 v128, v127
	v_add_f32_e32 v92, v2, v92
	v_fmac_f32_e32 v128, 0x3f62ad3f, v47
	v_add_f32_e32 v92, v128, v92
	v_mul_f32_e32 v128, 0xbf29c268, v55
	v_mov_b32_e32 v129, v128
	v_fmac_f32_e32 v122, 0xbf788fa5, v58
	v_fmac_f32_e32 v129, 0xbf3f9e67, v54
	v_add_f32_e32 v122, v3, v122
	v_fmac_f32_e32 v125, 0x3f62ad3f, v52
	v_add_f32_e32 v92, v92, v129
	v_mul_f32_e32 v129, 0x3f52af12, v57
	v_add_f32_e32 v122, v125, v122
	v_fmac_f32_e32 v93, 0xbf3f9e67, v56
	v_mov_b32_e32 v130, v129
	v_add_f32_e32 v93, v122, v93
	v_fmac_f32_e32 v94, 0x3f116cb1, v60
	v_fmac_f32_e32 v130, 0x3f116cb1, v59
	v_add_f32_e32 v93, v94, v93
	v_fmac_f32_e32 v95, 0xbeb58ec6, v64
	v_fma_f32 v94, v45, s10, -v126
	v_add_f32_e32 v92, v130, v92
	v_mul_f32_e32 v130, 0xbf6f5d39, v63
	v_add_f32_e32 v93, v95, v93
	v_add_f32_e32 v94, v2, v94
	v_fma_f32 v95, v47, s5, -v127
	v_mov_b32_e32 v131, v130
	v_add_f32_e32 v94, v95, v94
	v_fma_f32 v95, v54, s11, -v128
	v_fmac_f32_e32 v131, 0xbeb58ec6, v67
	v_mul_f32_e32 v96, 0x3f7e222b, v96
	v_add_f32_e32 v94, v94, v95
	v_fma_f32 v95, v59, s4, -v129
	v_add_f32_e32 v131, v131, v92
	v_fma_f32 v92, v72, s6, -v96
	v_mul_f32_e32 v132, 0x3f7e222b, v71
	v_add_f32_e32 v94, v95, v94
	v_fma_f32 v95, v67, s7, -v130
	v_fmac_f32_e32 v96, 0x3df6dbef, v72
	v_add_f32_e32 v95, v95, v94
	v_add_f32_e32 v94, v96, v93
	v_fma_f32 v93, v77, s6, -v132
	v_fmac_f32_e32 v112, 0xbf3f9e67, v58
	v_fmac_f32_e32 v36, 0xbeb58ec6, v58
	v_add_f32_e32 v93, v93, v95
	v_add_f32_e32 v95, v3, v112
	v_fmac_f32_e32 v113, 0x3df6dbef, v52
	v_fmac_f32_e32 v101, 0xbf3f9e67, v52
	v_add_f32_e32 v36, v3, v36
	v_add_f32_e32 v95, v113, v95
	v_fmac_f32_e32 v114, 0x3f116cb1, v56
	v_fma_f32 v96, v45, s11, -v117
	v_add_f32_e32 v36, v101, v36
	v_fmac_f32_e32 v102, 0x3f62ad3f, v56
	v_fma_f32 v45, v45, s7, -v106
	;; [unrolled: 3-line block ×4, first 2 shown]
	v_add_f32_e32 v45, v2, v45
	v_add_f32_e32 v95, v115, v95
	;; [unrolled: 1-line block ×3, first 2 shown]
	v_mul_f32_e32 v114, 0x3f62ad3f, v58
	v_mul_f32_e32 v115, 0x3f116cb1, v58
	;; [unrolled: 1-line block ×4, first 2 shown]
	v_add_f32_e32 v36, v103, v36
	v_mul_f32_e32 v103, 0xbf6f5d39, v50
	v_fmac_f32_e32 v104, 0xbf788fa5, v64
	v_mul_f32_e32 v117, 0xbe750f2a, v50
	v_add_f32_e32 v45, v47, v45
	v_fma_f32 v50, v54, s5, -v108
	v_add_f32_e32 v96, v112, v96
	v_fma_f32 v112, v54, s4, -v119
	v_mul_f32_e32 v102, 0x3f116cb1, v52
	v_add_f32_e32 v36, v104, v36
	v_mul_f32_e32 v104, 0xbeb58ec6, v52
	v_mul_f32_e32 v52, 0xbf788fa5, v52
	v_add_f32_e32 v45, v45, v50
	v_fma_f32 v50, v59, s6, -v109
	v_add_f32_e32 v58, v58, v89
	v_fmac_f32_e32 v116, 0x3f62ad3f, v64
	v_add_f32_e32 v96, v96, v112
	v_fma_f32 v112, v59, s10, -v120
	v_mul_f32_e32 v106, 0xbf7e222b, v55
	v_mul_f32_e32 v47, 0xbe750f2a, v55
	;; [unrolled: 1-line block ×4, first 2 shown]
	v_add_f32_e32 v45, v50, v45
	v_fma_f32 v50, v67, s10, -v110
	v_add_f32_e32 v52, v52, v90
	v_add_f32_e32 v58, v3, v58
	;; [unrolled: 1-line block ×3, first 2 shown]
	v_mov_b32_e32 v91, v132
	v_add_f32_e32 v95, v116, v95
	v_add_f32_e32 v96, v112, v96
	v_fma_f32 v113, v67, s5, -v121
	v_fmac_f32_e32 v123, 0xbeb58ec6, v72
	v_mul_f32_e32 v59, 0xbeb58ec6, v60
	v_mul_f32_e32 v67, 0xbf3f9e67, v60
	;; [unrolled: 1-line block ×3, first 2 shown]
	v_add_f32_e32 v45, v50, v45
	v_fma_f32 v50, v77, s4, -v111
	v_add_f32_e32 v52, v52, v58
	v_add_f32_e32 v55, v55, v87
	v_fmac_f32_e32 v91, 0x3df6dbef, v77
	v_add_f32_e32 v113, v113, v96
	v_add_f32_e32 v96, v123, v95
	v_fma_f32 v95, v77, s7, -v124
	v_mul_f32_e32 v77, 0xbf3f9e67, v64
	v_add_f32_e32 v50, v50, v45
	v_mul_f32_e32 v45, 0x3df6dbef, v64
	v_mul_f32_e32 v64, 0x3f116cb1, v64
	v_add_f32_e32 v52, v52, v55
	v_add_f32_e32 v55, v60, v85
	v_fmac_f32_e32 v105, 0x3f116cb1, v72
	v_mul_f32_e32 v90, 0xbf788fa5, v72
	v_mul_f32_e32 v87, 0x3f62ad3f, v72
	;; [unrolled: 1-line block ×3, first 2 shown]
	v_add_f32_e32 v52, v55, v52
	v_add_f32_e32 v55, v64, v86
	v_mul_f32_e32 v116, 0xbf7e222b, v51
	v_add_f32_e32 v52, v55, v52
	v_add_f32_e32 v55, v72, v88
	;; [unrolled: 1-line block ×3, first 2 shown]
	v_sub_f32_e32 v52, v79, v116
	v_add_f32_e32 v52, v2, v52
	v_sub_f32_e32 v60, v80, v117
	v_mul_f32_e32 v107, 0x3df6dbef, v56
	v_mul_f32_e32 v108, 0xbf788fa5, v56
	;; [unrolled: 1-line block ×5, first 2 shown]
	v_add_f32_e32 v52, v60, v52
	v_sub_f32_e32 v54, v81, v54
	v_mul_f32_e32 v112, 0xbeedf032, v51
	v_add_f32_e32 v95, v95, v113
	v_mul_f32_e32 v113, 0xbf52af12, v51
	v_mul_f32_e32 v109, 0xbf29c268, v63
	v_add_f32_e32 v51, v105, v36
	v_mul_f32_e32 v36, 0x3f7e222b, v63
	v_mul_f32_e32 v63, 0xbf52af12, v63
	v_add_f32_e32 v52, v52, v54
	v_sub_f32_e32 v54, v82, v57
	v_mul_f32_e32 v89, 0xbe750f2a, v71
	v_mul_f32_e32 v58, 0x3eedf032, v71
	;; [unrolled: 1-line block ×3, first 2 shown]
	v_add_f32_e32 v52, v54, v52
	v_sub_f32_e32 v54, v83, v63
	v_add_f32_e32 v52, v54, v52
	v_sub_f32_e32 v54, v84, v71
	v_add_f32_e32 v54, v54, v52
	v_add_f32_e32 v52, v115, v68
	;; [unrolled: 1-line block ×13, first 2 shown]
	v_sub_f32_e32 v45, v61, v113
	v_add_f32_e32 v45, v2, v45
	v_sub_f32_e32 v52, v62, v103
	v_add_f32_e32 v45, v52, v45
	;; [unrolled: 2-line block ×6, first 2 shown]
	v_add_f32_e32 v36, v114, v39
	v_add_f32_e32 v36, v3, v36
	;; [unrolled: 1-line block ×12, first 2 shown]
	v_sub_f32_e32 v36, v37, v112
	v_add_f32_e32 v36, v2, v36
	v_add_f32_e32 v3, v3, v9
	;; [unrolled: 1-line block ×13, first 2 shown]
	v_sub_f32_e32 v37, v38, v101
	v_add_f32_e32 v3, v3, v21
	v_add_f32_e32 v2, v2, v20
	v_add_f32_e32 v36, v37, v36
	v_sub_f32_e32 v37, v41, v106
	v_add_f32_e32 v3, v3, v23
	v_add_f32_e32 v2, v2, v22
	v_add_f32_e32 v36, v36, v37
	;; [unrolled: 4-line block ×4, first 2 shown]
	v_sub_f32_e32 v37, v49, v89
	v_add_f32_e32 v3, v31, v3
	v_add_f32_e32 v2, v30, v2
	v_mul_u32_u24_e32 v8, 0x68, v24
	v_add_f32_e32 v38, v37, v36
	v_add_f32_e32 v3, v35, v3
	;; [unrolled: 1-line block ×3, first 2 shown]
	v_add3_u32 v8, 0, v8, v25
	v_add_f32_e32 v91, v91, v131
	ds_write2_b64 v8, v[2:3], v[38:39] offset1:1
	ds_write2_b64 v8, v[56:57], v[54:55] offset0:2 offset1:3
	ds_write2_b64 v8, v[50:51], v[95:96] offset0:4 offset1:5
	;; [unrolled: 1-line block ×5, first 2 shown]
	ds_write_b64 v8, v[0:1] offset:96
.LBB0_13:
	s_or_b64 exec, exec, s[2:3]
	s_movk_i32 s0, 0x4f
	v_mul_lo_u16_sdwa v37, v24, s0 dst_sel:DWORD dst_unused:UNUSED_PAD src0_sel:BYTE_0 src1_sel:DWORD
	v_add_u32_e32 v32, 0x5b, v24
	v_lshrrev_b16_e32 v48, 10, v37
	v_mul_lo_u16_e32 v8, 13, v48
	v_mul_lo_u16_sdwa v35, v32, s0 dst_sel:DWORD dst_unused:UNUSED_PAD src0_sel:BYTE_0 src1_sel:DWORD
	v_sub_u16_e32 v8, v24, v8
	v_mov_b32_e32 v36, 3
	v_lshrrev_b16_e32 v50, 10, v35
	v_lshlrev_b32_sdwa v49, v36, v8 dst_sel:DWORD dst_unused:UNUSED_PAD src0_sel:DWORD src1_sel:BYTE_0
	v_mul_lo_u16_e32 v8, 13, v50
	v_add_u32_e32 v2, 0xb6, v24
	v_sub_u16_e32 v8, v32, v8
	s_movk_i32 s0, 0x4ec5
	v_lshlrev_b32_sdwa v51, v36, v8 dst_sel:DWORD dst_unused:UNUSED_PAD src0_sel:DWORD src1_sel:BYTE_0
	v_mul_u32_u24_sdwa v8, v2, s0 dst_sel:DWORD dst_unused:UNUSED_PAD src0_sel:WORD_0 src1_sel:DWORD
	v_lshrrev_b32_e32 v52, 18, v8
	v_mul_lo_u16_e32 v8, 13, v52
	v_add_u32_e32 v3, 0x111, v24
	v_sub_u16_e32 v2, v2, v8
	v_lshlrev_b32_e32 v53, 3, v2
	v_mul_u32_u24_sdwa v2, v3, s0 dst_sel:DWORD dst_unused:UNUSED_PAD src0_sel:WORD_0 src1_sel:DWORD
	v_lshrrev_b32_e32 v54, 18, v2
	v_mul_lo_u16_e32 v2, 13, v54
	v_add_u32_e32 v10, 0x16c, v24
	v_sub_u16_e32 v2, v3, v2
	v_lshlrev_b32_e32 v55, 3, v2
	v_mul_u32_u24_sdwa v2, v10, s0 dst_sel:DWORD dst_unused:UNUSED_PAD src0_sel:WORD_0 src1_sel:DWORD
	v_lshrrev_b32_e32 v56, 18, v2
	v_mul_lo_u16_e32 v2, 13, v56
	s_waitcnt lgkmcnt(0)
	s_barrier
	global_load_dwordx2 v[8:9], v49, s[8:9]
	global_load_dwordx2 v[22:23], v51, s[8:9]
	global_load_dwordx2 v[28:29], v53, s[8:9]
	global_load_dwordx2 v[30:31], v55, s[8:9]
	v_sub_u16_e32 v2, v10, v2
	v_lshlrev_b32_e32 v57, 3, v2
	global_load_dwordx2 v[42:43], v57, s[8:9]
	v_lshlrev_b32_e32 v2, 3, v24
	v_add3_u32 v34, 0, v2, v25
	v_add3_u32 v33, 0, v25, v2
	v_add_u32_e32 v2, 0xc00, v34
	v_add_u32_e32 v18, 0x1000, v34
	ds_read2_b64 v[10:13], v34 offset0:91 offset1:182
	v_add_u32_e32 v3, 0x800, v34
	ds_read2_b64 v[14:17], v2 offset0:71 offset1:162
	ds_read_b64 v[44:45], v33
	ds_read_b64 v[46:47], v34 offset:6552
	ds_read2_b64 v[18:21], v18 offset0:125 offset1:216
	ds_read2_b64 v[38:41], v3 offset0:17 offset1:108
	s_movk_i32 s0, 0xd0
	s_waitcnt vmcnt(0) lgkmcnt(0)
	s_barrier
	v_mul_f32_e32 v58, v9, v15
	v_mul_f32_e32 v9, v9, v14
	;; [unrolled: 1-line block ×5, first 2 shown]
	v_fma_f32 v14, v8, v14, -v58
	v_fmac_f32_e32 v9, v8, v15
	v_fma_f32 v8, v22, v16, -v59
	v_fma_f32 v20, v30, v20, -v61
	v_mul_f32_e32 v23, v23, v16
	v_mul_f32_e32 v62, v43, v47
	v_sub_f32_e32 v16, v10, v8
	v_sub_f32_e32 v8, v38, v20
	v_mul_f32_e32 v60, v29, v19
	v_mul_f32_e32 v29, v29, v18
	v_fmac_f32_e32 v31, v30, v21
	v_fma_f32 v21, v42, v46, -v62
	v_sub_f32_e32 v14, v44, v14
	v_sub_f32_e32 v15, v45, v9
	v_fma_f32 v30, v38, 2.0, -v8
	v_mad_u32_u24 v38, v48, s0, 0
	v_fmac_f32_e32 v23, v22, v17
	v_fma_f32 v18, v28, v18, -v60
	v_fmac_f32_e32 v29, v28, v19
	v_sub_f32_e32 v28, v40, v21
	v_fma_f32 v20, v44, 2.0, -v14
	v_fma_f32 v21, v45, 2.0, -v15
	v_add3_u32 v38, v38, v49, v25
	v_sub_f32_e32 v17, v11, v23
	ds_write2_b64 v38, v[20:21], v[14:15] offset1:13
	v_mad_u32_u24 v14, v50, s0, 0
	v_fma_f32 v22, v10, 2.0, -v16
	v_fma_f32 v23, v11, 2.0, -v17
	v_add3_u32 v14, v14, v51, v25
	v_sub_f32_e32 v18, v12, v18
	v_sub_f32_e32 v19, v13, v29
	ds_write2_b64 v14, v[22:23], v[16:17] offset1:13
	v_mad_u32_u24 v14, v52, s0, 0
	v_fma_f32 v12, v12, 2.0, -v18
	v_fma_f32 v13, v13, 2.0, -v19
	v_add3_u32 v14, v14, v53, v25
	v_mul_f32_e32 v43, v43, v46
	v_sub_f32_e32 v9, v39, v31
	ds_write2_b64 v14, v[12:13], v[18:19] offset1:13
	v_mad_u32_u24 v12, v54, s0, 0
	v_fmac_f32_e32 v43, v42, v47
	v_fma_f32 v31, v39, 2.0, -v9
	v_add3_u32 v12, v12, v55, v25
	v_sub_f32_e32 v29, v41, v43
	ds_write2_b64 v12, v[30:31], v[8:9] offset1:13
	v_mad_u32_u24 v12, v56, s0, 0
	v_fma_f32 v10, v40, 2.0, -v28
	v_fma_f32 v11, v41, 2.0, -v29
	v_add3_u32 v12, v12, v57, v25
	ds_write2_b64 v12, v[10:11], v[28:29] offset1:13
	v_add_u32_e32 v12, 0x400, v34
	v_add_u32_e32 v38, 0x1400, v34
	s_waitcnt lgkmcnt(0)
	s_barrier
	ds_read_b64 v[30:31], v33
	ds_read2_b64 v[20:23], v12 offset0:2 offset1:132
	ds_read2_b64 v[12:15], v2 offset0:6 offset1:136
	;; [unrolled: 1-line block ×3, first 2 shown]
	v_cmp_gt_u32_e64 s[0:1], 39, v24
	s_and_saveexec_b64 s[2:3], s[0:1]
	s_cbranch_execz .LBB0_15
; %bb.14:
	ds_read2_b64 v[8:11], v34 offset0:91 offset1:221
	ds_read2_b32 v[28:29], v3 offset0:190 offset1:191
	ds_read2_b64 v[4:7], v2 offset0:97 offset1:227
	ds_read2_b64 v[0:3], v38 offset0:101 offset1:231
.LBB0_15:
	s_or_b64 exec, exec, s[2:3]
	v_lshrrev_b16_e32 v50, 11, v37
	v_mul_lo_u16_e32 v37, 26, v50
	v_sub_u16_e32 v51, v24, v37
	v_mov_b32_e32 v37, 6
	v_mul_u32_u24_sdwa v38, v51, v37 dst_sel:DWORD dst_unused:UNUSED_PAD src0_sel:BYTE_0 src1_sel:DWORD
	v_lshlrev_b32_e32 v52, 3, v38
	global_load_dwordx4 v[38:41], v52, s[8:9] offset:104
	global_load_dwordx4 v[42:45], v52, s[8:9] offset:120
	;; [unrolled: 1-line block ×3, first 2 shown]
	s_mov_b32 s4, 0x3f5ff5aa
	s_mov_b32 s5, 0x3f3bfb3b
	;; [unrolled: 1-line block ×4, first 2 shown]
	s_movk_i32 s10, 0x5b0
	v_lshlrev_b32_sdwa v36, v36, v51 dst_sel:DWORD dst_unused:UNUSED_PAD src0_sel:DWORD src1_sel:BYTE_0
	s_waitcnt vmcnt(0) lgkmcnt(0)
	s_barrier
	v_mul_f32_e32 v52, v39, v21
	v_mul_f32_e32 v39, v39, v20
	;; [unrolled: 1-line block ×12, first 2 shown]
	v_fma_f32 v20, v38, v20, -v52
	v_fmac_f32_e32 v39, v38, v21
	v_fma_f32 v21, v40, v22, -v53
	v_fmac_f32_e32 v43, v42, v13
	;; [unrolled: 2-line block ×3, first 2 shown]
	v_fma_f32 v14, v46, v16, -v56
	v_fma_f32 v15, v48, v18, -v57
	v_fmac_f32_e32 v41, v40, v23
	v_fma_f32 v12, v42, v12, -v54
	v_fmac_f32_e32 v47, v46, v17
	v_fmac_f32_e32 v49, v48, v19
	v_add_f32_e32 v16, v20, v15
	v_add_f32_e32 v19, v21, v14
	;; [unrolled: 1-line block ×3, first 2 shown]
	v_sub_f32_e32 v15, v20, v15
	v_add_f32_e32 v20, v41, v47
	v_sub_f32_e32 v14, v21, v14
	v_add_f32_e32 v22, v12, v13
	v_add_f32_e32 v23, v43, v45
	v_sub_f32_e32 v12, v13, v12
	v_add_f32_e32 v38, v19, v16
	v_sub_f32_e32 v18, v39, v49
	v_sub_f32_e32 v21, v41, v47
	;; [unrolled: 1-line block ×3, first 2 shown]
	v_add_f32_e32 v39, v20, v17
	v_sub_f32_e32 v40, v19, v16
	v_sub_f32_e32 v41, v20, v17
	;; [unrolled: 1-line block ×5, first 2 shown]
	v_add_f32_e32 v42, v12, v14
	v_sub_f32_e32 v44, v12, v14
	v_add_f32_e32 v22, v22, v38
	v_sub_f32_e32 v17, v17, v23
	v_add_f32_e32 v43, v13, v21
	v_sub_f32_e32 v45, v13, v21
	v_sub_f32_e32 v46, v15, v12
	v_sub_f32_e32 v14, v14, v15
	;; [unrolled: 1-line block ×3, first 2 shown]
	v_add_f32_e32 v23, v23, v39
	v_add_f32_e32 v15, v42, v15
	v_mul_f32_e32 v39, 0x3d64c772, v20
	v_mul_f32_e32 v42, 0xbf08b237, v44
	v_add_f32_e32 v12, v22, v30
	v_sub_f32_e32 v47, v18, v13
	v_add_f32_e32 v18, v43, v18
	v_mul_f32_e32 v16, 0x3f4a47b2, v16
	v_mul_f32_e32 v17, 0x3f4a47b2, v17
	;; [unrolled: 1-line block ×6, first 2 shown]
	v_add_f32_e32 v13, v23, v31
	v_fma_f32 v31, v41, s5, -v39
	v_fma_f32 v39, v14, s4, -v42
	v_mov_b32_e32 v14, v12
	v_fma_f32 v30, v40, s5, -v38
	v_fma_f32 v38, v40, s6, -v16
	v_fmac_f32_e32 v16, 0x3d64c772, v19
	v_fma_f32 v19, v41, s6, -v17
	v_fmac_f32_e32 v17, 0x3d64c772, v20
	v_fma_f32 v20, v21, s4, -v43
	v_mov_b32_e32 v21, v13
	v_fmac_f32_e32 v14, 0xbf955555, v22
	v_fma_f32 v22, v47, s7, -v45
	v_fmac_f32_e32 v42, 0x3eae86e6, v46
	v_fmac_f32_e32 v43, 0x3eae86e6, v47
	;; [unrolled: 1-line block ×3, first 2 shown]
	v_add_f32_e32 v38, v38, v14
	v_fmac_f32_e32 v22, 0x3ee1c552, v18
	v_fma_f32 v23, v46, s7, -v44
	v_add_f32_e32 v40, v16, v14
	v_add_f32_e32 v41, v17, v21
	v_fmac_f32_e32 v42, 0x3ee1c552, v15
	v_fmac_f32_e32 v43, 0x3ee1c552, v18
	v_add_f32_e32 v16, v22, v38
	v_sub_f32_e32 v22, v38, v22
	v_mad_u32_u24 v38, v50, s10, 0
	v_add_f32_e32 v30, v30, v14
	v_add_f32_e32 v31, v31, v21
	;; [unrolled: 1-line block ×3, first 2 shown]
	v_fmac_f32_e32 v39, 0x3ee1c552, v15
	v_fmac_f32_e32 v20, 0x3ee1c552, v18
	;; [unrolled: 1-line block ×3, first 2 shown]
	v_add_f32_e32 v14, v43, v40
	v_sub_f32_e32 v15, v41, v42
	v_add3_u32 v36, v38, v36, v25
	v_sub_f32_e32 v17, v44, v23
	v_sub_f32_e32 v18, v30, v20
	v_add_f32_e32 v19, v39, v31
	v_add_f32_e32 v20, v20, v30
	v_sub_f32_e32 v21, v31, v39
	v_add_f32_e32 v23, v23, v44
	v_sub_f32_e32 v30, v40, v43
	v_add_f32_e32 v31, v42, v41
	ds_write2_b64 v36, v[12:13], v[14:15] offset1:26
	ds_write2_b64 v36, v[16:17], v[18:19] offset0:52 offset1:78
	ds_write2_b64 v36, v[20:21], v[22:23] offset0:104 offset1:130
	ds_write_b64 v36, v[30:31] offset:1248
	s_and_saveexec_b64 s[2:3], s[0:1]
	s_cbranch_execz .LBB0_17
; %bb.16:
	v_lshrrev_b16_e32 v30, 11, v35
	v_mul_lo_u16_e32 v12, 26, v30
	v_sub_u16_e32 v31, v32, v12
	v_mul_u32_u24_sdwa v12, v31, v37 dst_sel:DWORD dst_unused:UNUSED_PAD src0_sel:BYTE_0 src1_sel:DWORD
	v_lshlrev_b32_e32 v35, 3, v12
	global_load_dwordx4 v[12:15], v35, s[8:9] offset:104
	global_load_dwordx4 v[16:19], v35, s[8:9] offset:136
	;; [unrolled: 1-line block ×3, first 2 shown]
	s_waitcnt vmcnt(2)
	v_mul_f32_e32 v35, v11, v13
	s_waitcnt vmcnt(1)
	v_mul_f32_e32 v36, v3, v19
	;; [unrolled: 2-line block ×3, first 2 shown]
	v_mul_f32_e32 v38, v5, v21
	v_mul_f32_e32 v39, v29, v15
	;; [unrolled: 1-line block ×9, first 2 shown]
	v_fma_f32 v10, v10, v12, -v35
	v_fma_f32 v2, v2, v18, -v36
	;; [unrolled: 1-line block ×6, first 2 shown]
	v_fmac_f32_e32 v19, v3, v18
	v_fmac_f32_e32 v13, v11, v12
	v_fmac_f32_e32 v21, v5, v20
	v_fmac_f32_e32 v23, v7, v22
	v_fmac_f32_e32 v17, v1, v16
	v_fmac_f32_e32 v15, v29, v14
	v_sub_f32_e32 v1, v10, v2
	v_sub_f32_e32 v3, v6, v4
	;; [unrolled: 1-line block ×3, first 2 shown]
	v_add_f32_e32 v2, v10, v2
	v_add_f32_e32 v0, v28, v0
	;; [unrolled: 1-line block ×6, first 2 shown]
	v_sub_f32_e32 v6, v13, v19
	v_sub_f32_e32 v10, v23, v21
	v_sub_f32_e32 v13, v15, v17
	v_sub_f32_e32 v15, v3, v5
	v_add_f32_e32 v21, v0, v2
	v_sub_f32_e32 v19, v2, v4
	v_sub_f32_e32 v20, v4, v0
	;; [unrolled: 1-line block ×3, first 2 shown]
	v_mul_f32_e32 v15, 0xbf08b237, v15
	v_add_f32_e32 v4, v4, v21
	v_sub_f32_e32 v14, v1, v3
	v_add_f32_e32 v3, v3, v5
	v_sub_f32_e32 v16, v7, v11
	v_sub_f32_e32 v17, v11, v12
	v_add_f32_e32 v18, v12, v7
	v_sub_f32_e32 v7, v12, v7
	v_sub_f32_e32 v12, v0, v2
	v_mul_f32_e32 v5, 0x3f5ff5aa, v28
	v_mov_b32_e32 v21, v15
	v_add_f32_e32 v0, v8, v4
	v_sub_f32_e32 v22, v6, v10
	v_sub_f32_e32 v23, v10, v13
	v_add_f32_e32 v10, v10, v13
	v_add_f32_e32 v29, v3, v1
	;; [unrolled: 1-line block ×3, first 2 shown]
	v_mul_f32_e32 v11, 0x3f4a47b2, v19
	v_fma_f32 v36, v14, s7, -v5
	v_fmac_f32_e32 v21, 0x3eae86e6, v14
	v_mov_b32_e32 v14, v0
	v_mul_f32_e32 v2, 0x3f4a47b2, v16
	v_mul_f32_e32 v19, 0xbf08b237, v23
	v_add_f32_e32 v10, v10, v6
	v_add_f32_e32 v1, v9, v3
	v_mov_b32_e32 v9, v11
	v_fmac_f32_e32 v14, 0xbf955555, v4
	v_fma_f32 v4, v12, s6, -v11
	v_sub_f32_e32 v6, v13, v6
	v_mul_f32_e32 v16, 0x3d64c772, v17
	v_mul_f32_e32 v18, 0x3d64c772, v20
	v_mov_b32_e32 v23, v2
	v_mov_b32_e32 v35, v19
	;; [unrolled: 1-line block ×3, first 2 shown]
	v_fmac_f32_e32 v9, 0x3d64c772, v20
	v_add_f32_e32 v37, v4, v14
	v_mul_f32_e32 v4, 0x3f5ff5aa, v6
	v_fma_f32 v2, v7, s6, -v2
	v_fmac_f32_e32 v23, 0x3d64c772, v17
	v_fmac_f32_e32 v35, 0x3eae86e6, v22
	;; [unrolled: 1-line block ×3, first 2 shown]
	v_add_f32_e32 v20, v9, v14
	v_fma_f32 v13, v22, s7, -v4
	v_fma_f32 v7, v7, s5, -v16
	v_fma_f32 v9, v28, s4, -v15
	v_fma_f32 v11, v6, s4, -v19
	v_fma_f32 v6, v12, s5, -v18
	v_mov_b32_e32 v15, 3
	v_fmac_f32_e32 v21, 0x3ee1c552, v29
	v_fmac_f32_e32 v35, 0x3ee1c552, v10
	v_add_f32_e32 v17, v23, v8
	v_add_f32_e32 v23, v2, v8
	v_fmac_f32_e32 v13, 0x3ee1c552, v10
	v_add_f32_e32 v8, v7, v8
	v_fmac_f32_e32 v9, 0x3ee1c552, v29
	v_fmac_f32_e32 v11, 0x3ee1c552, v10
	v_add_f32_e32 v10, v6, v14
	v_mad_u32_u24 v14, v30, s10, 0
	v_lshlrev_b32_sdwa v15, v15, v31 dst_sel:DWORD dst_unused:UNUSED_PAD src0_sel:DWORD src1_sel:BYTE_0
	v_fmac_f32_e32 v36, 0x3ee1c552, v29
	v_sub_f32_e32 v4, v37, v13
	v_sub_f32_e32 v7, v8, v9
	v_add_f32_e32 v6, v11, v10
	v_add_f32_e32 v9, v9, v8
	v_sub_f32_e32 v8, v10, v11
	v_add_f32_e32 v10, v13, v37
	v_sub_f32_e32 v13, v17, v21
	v_add_f32_e32 v12, v35, v20
	v_add3_u32 v14, v14, v15, v25
	v_add_f32_e32 v3, v21, v17
	v_sub_f32_e32 v2, v20, v35
	v_add_f32_e32 v5, v36, v23
	v_sub_f32_e32 v11, v23, v36
	ds_write2_b64 v14, v[0:1], v[12:13] offset1:26
	ds_write2_b64 v14, v[10:11], v[8:9] offset0:52 offset1:78
	ds_write2_b64 v14, v[6:7], v[4:5] offset0:104 offset1:130
	ds_write_b64 v14, v[2:3] offset:1248
.LBB0_17:
	s_or_b64 exec, exec, s[2:3]
	s_waitcnt lgkmcnt(0)
	s_barrier
	s_and_saveexec_b64 s[0:1], vcc
	s_cbranch_execz .LBB0_19
; %bb.18:
	v_lshlrev_b32_e32 v37, 2, v32
	v_mov_b32_e32 v38, 0
	v_lshlrev_b64 v[0:1], 3, v[37:38]
	v_mov_b32_e32 v22, s9
	v_add_co_u32_e32 v8, vcc, s8, v0
	v_addc_co_u32_e32 v9, vcc, v22, v1, vcc
	global_load_dwordx4 v[0:3], v[8:9], off offset:1352
	global_load_dwordx4 v[4:7], v[8:9], off offset:1368
	v_lshlrev_b32_e32 v37, 2, v24
	v_lshlrev_b64 v[20:21], 3, v[37:38]
	v_add_u32_e32 v12, 0x800, v34
	v_add_co_u32_e32 v35, vcc, s8, v20
	v_add_u32_e32 v16, 0xc00, v34
	v_addc_co_u32_e32 v36, vcc, v22, v21, vcc
	ds_read2_b64 v[8:11], v34 offset0:91 offset1:182
	ds_read2_b64 v[12:15], v12 offset0:17 offset1:108
	;; [unrolled: 1-line block ×3, first 2 shown]
	global_load_dwordx4 v[20:23], v[35:36], off offset:1368
	global_load_dwordx4 v[28:31], v[35:36], off offset:1352
	v_add_u32_e32 v25, 0x1000, v34
	ds_read_b64 v[39:40], v34 offset:6552
	ds_read2_b64 v[34:37], v25 offset0:125 offset1:216
	ds_read_b64 v[41:42], v33
	s_mov_b32 s1, 0xb40b40b5
	s_movk_i32 s0, 0x1000
	s_waitcnt vmcnt(3) lgkmcnt(4)
	v_mul_f32_e32 v25, v0, v13
	s_waitcnt lgkmcnt(3)
	v_mul_f32_e32 v33, v2, v17
	s_waitcnt vmcnt(2) lgkmcnt(2)
	v_mul_f32_e32 v43, v6, v40
	s_waitcnt lgkmcnt(1)
	v_mul_f32_e32 v44, v4, v35
	v_mul_f32_e32 v17, v3, v17
	;; [unrolled: 1-line block ×5, first 2 shown]
	v_fmac_f32_e32 v25, v1, v12
	v_fmac_f32_e32 v33, v3, v16
	;; [unrolled: 1-line block ×4, first 2 shown]
	v_fma_f32 v16, v16, v2, -v17
	v_fma_f32 v17, v34, v4, -v35
	;; [unrolled: 1-line block ×4, first 2 shown]
	v_sub_f32_e32 v0, v25, v33
	v_sub_f32_e32 v1, v43, v44
	v_add_f32_e32 v2, v33, v44
	v_sub_f32_e32 v3, v12, v16
	v_sub_f32_e32 v4, v13, v17
	v_add_f32_e32 v45, v25, v43
	v_add_f32_e32 v5, v16, v17
	v_sub_f32_e32 v6, v33, v25
	v_sub_f32_e32 v7, v44, v43
	v_add_f32_e32 v49, v0, v1
	v_fma_f32 v1, -0.5, v2, v9
	v_add_f32_e32 v50, v3, v4
	v_fma_f32 v3, -0.5, v45, v9
	v_sub_f32_e32 v34, v16, v17
	v_sub_f32_e32 v35, v12, v13
	v_add_f32_e32 v48, v12, v13
	v_fma_f32 v0, -0.5, v5, v8
	v_add_f32_e32 v51, v6, v7
	v_mov_b32_e32 v5, v1
	v_mov_b32_e32 v7, v3
	v_fma_f32 v2, -0.5, v48, v8
	v_fmac_f32_e32 v3, 0x3f737871, v34
	v_fmac_f32_e32 v1, 0xbf737871, v35
	v_fmac_f32_e32 v5, 0x3f737871, v35
	v_fmac_f32_e32 v7, 0xbf737871, v34
	v_add_f32_e32 v9, v25, v9
	v_add_f32_e32 v8, v12, v8
	v_sub_f32_e32 v39, v25, v43
	v_sub_f32_e32 v40, v33, v44
	v_fmac_f32_e32 v3, 0xbf167918, v35
	v_fmac_f32_e32 v1, 0xbf167918, v34
	;; [unrolled: 1-line block ×4, first 2 shown]
	v_add_f32_e32 v9, v33, v9
	v_add_f32_e32 v8, v16, v8
	s_waitcnt vmcnt(0)
	v_mul_f32_e32 v25, v28, v11
	v_mul_f32_e32 v33, v30, v15
	;; [unrolled: 1-line block ×4, first 2 shown]
	v_mov_b32_e32 v6, v2
	v_add_f32_e32 v8, v17, v8
	v_fmac_f32_e32 v25, v29, v10
	v_fmac_f32_e32 v33, v31, v14
	;; [unrolled: 1-line block ×4, first 2 shown]
	v_sub_f32_e32 v46, v16, v12
	v_sub_f32_e32 v47, v17, v13
	v_mov_b32_e32 v4, v0
	v_fmac_f32_e32 v2, 0xbf737871, v40
	v_fmac_f32_e32 v6, 0x3f737871, v40
	v_add_f32_e32 v8, v13, v8
	v_sub_f32_e32 v12, v25, v33
	v_sub_f32_e32 v13, v34, v35
	v_fmac_f32_e32 v4, 0xbf737871, v39
	v_fmac_f32_e32 v2, 0x3f167918, v39
	;; [unrolled: 1-line block ×4, first 2 shown]
	v_add_f32_e32 v39, v12, v13
	v_mul_f32_e32 v12, v31, v15
	v_fma_f32 v30, v30, v14, -v12
	v_mul_f32_e32 v12, v21, v19
	v_mul_f32_e32 v11, v29, v11
	v_fma_f32 v18, v20, v18, -v12
	v_fma_f32 v20, v28, v10, -v11
	v_mul_f32_e32 v10, v23, v37
	v_fma_f32 v21, v22, v36, -v10
	v_add_f32_e32 v10, v33, v35
	s_waitcnt lgkmcnt(0)
	v_fma_f32 v11, -0.5, v10, v42
	v_sub_f32_e32 v10, v20, v30
	v_sub_f32_e32 v12, v21, v18
	;; [unrolled: 1-line block ×4, first 2 shown]
	v_add_f32_e32 v23, v10, v12
	v_add_f32_e32 v10, v30, v18
	v_add_f32_e32 v31, v14, v15
	v_add_f32_e32 v14, v25, v34
	v_fma_f32 v10, -0.5, v10, v41
	v_fma_f32 v15, -0.5, v14, v42
	v_sub_f32_e32 v14, v30, v20
	v_sub_f32_e32 v16, v18, v21
	;; [unrolled: 1-line block ×4, first 2 shown]
	v_mov_b32_e32 v13, v11
	v_sub_f32_e32 v28, v25, v34
	v_mov_b32_e32 v12, v10
	v_mov_b32_e32 v17, v15
	v_add_f32_e32 v36, v14, v16
	v_add_f32_e32 v14, v20, v21
	;; [unrolled: 1-line block ×3, first 2 shown]
	v_fmac_f32_e32 v13, 0x3f737871, v22
	v_fmac_f32_e32 v12, 0xbf737871, v28
	v_sub_f32_e32 v29, v33, v35
	v_fmac_f32_e32 v17, 0xbf737871, v19
	v_fmac_f32_e32 v15, 0x3f737871, v19
	;; [unrolled: 1-line block ×4, first 2 shown]
	v_add_f32_e32 v20, v30, v20
	v_fmac_f32_e32 v13, 0x3f167918, v19
	v_fmac_f32_e32 v12, 0xbf167918, v29
	;; [unrolled: 1-line block ×6, first 2 shown]
	v_add_f32_e32 v19, v25, v42
	v_add_f32_e32 v18, v20, v18
	v_mov_b32_e32 v25, v38
	v_mov_b32_e32 v20, s13
	v_add_co_u32_e32 v22, vcc, s12, v26
	v_fmac_f32_e32 v12, 0x3e9e377a, v23
	v_fmac_f32_e32 v10, 0x3e9e377a, v23
	v_add_f32_e32 v18, v21, v18
	v_addc_co_u32_e32 v23, vcc, v20, v27, vcc
	v_lshlrev_b64 v[20:21], 3, v[24:25]
	v_fma_f32 v14, -0.5, v14, v41
	v_add_f32_e32 v19, v33, v19
	v_mov_b32_e32 v16, v14
	v_fmac_f32_e32 v14, 0xbf737871, v29
	v_add_f32_e32 v19, v19, v35
	v_add_co_u32_e32 v20, vcc, v22, v20
	v_fmac_f32_e32 v14, 0x3f167918, v28
	v_add_f32_e32 v19, v34, v19
	v_addc_co_u32_e32 v21, vcc, v23, v21, vcc
	v_fmac_f32_e32 v15, 0x3e9e377a, v31
	v_fmac_f32_e32 v14, 0x3e9e377a, v36
	;; [unrolled: 1-line block ×3, first 2 shown]
	global_store_dwordx2 v[20:21], v[18:19], off
	global_store_dwordx2 v[20:21], v[10:11], off offset:1456
	global_store_dwordx2 v[20:21], v[14:15], off offset:2912
	v_lshrrev_b32_e32 v10, 1, v32
	v_mul_hi_u32 v14, v10, s1
	v_fmac_f32_e32 v16, 0x3f737871, v29
	v_fmac_f32_e32 v16, 0xbf167918, v28
	v_add_co_u32_e32 v10, vcc, s0, v20
	v_fmac_f32_e32 v17, 0x3e9e377a, v31
	v_fmac_f32_e32 v16, 0x3e9e377a, v36
	v_addc_co_u32_e32 v11, vcc, 0, v21, vcc
	v_fmac_f32_e32 v13, 0x3e9e377a, v39
	global_store_dwordx2 v[10:11], v[16:17], off offset:272
	global_store_dwordx2 v[10:11], v[12:13], off offset:1728
	v_lshrrev_b32_e32 v10, 6, v14
	v_mul_u32_u24_e32 v37, 0x2d8, v10
	v_lshlrev_b64 v[10:11], 3, v[37:38]
	v_fmac_f32_e32 v0, 0x3f167918, v40
	v_add_f32_e32 v9, v44, v9
	v_add_co_u32_e32 v10, vcc, v20, v10
	v_add_f32_e32 v45, v46, v47
	v_fmac_f32_e32 v0, 0x3e9e377a, v50
	v_add_f32_e32 v9, v43, v9
	v_addc_co_u32_e32 v11, vcc, v21, v11, vcc
	v_fmac_f32_e32 v3, 0x3e9e377a, v51
	v_fmac_f32_e32 v2, 0x3e9e377a, v45
	v_fmac_f32_e32 v1, 0x3e9e377a, v49
	global_store_dwordx2 v[10:11], v[8:9], off offset:728
	global_store_dwordx2 v[10:11], v[0:1], off offset:2184
	;; [unrolled: 1-line block ×3, first 2 shown]
	v_add_co_u32_e32 v0, vcc, 0x1000, v10
	v_fmac_f32_e32 v4, 0xbf167918, v40
	v_fmac_f32_e32 v7, 0x3e9e377a, v51
	;; [unrolled: 1-line block ×3, first 2 shown]
	v_addc_co_u32_e32 v1, vcc, 0, v11, vcc
	v_fmac_f32_e32 v5, 0x3e9e377a, v49
	v_fmac_f32_e32 v4, 0x3e9e377a, v50
	global_store_dwordx2 v[0:1], v[6:7], off offset:1000
	global_store_dwordx2 v[0:1], v[4:5], off offset:2456
.LBB0_19:
	s_endpgm
	.section	.rodata,"a",@progbits
	.p2align	6, 0x0
	.amdhsa_kernel fft_rtc_fwd_len910_factors_13_2_7_5_wgs_182_tpt_91_sp_ip_CI_unitstride_sbrr_dirReg
		.amdhsa_group_segment_fixed_size 0
		.amdhsa_private_segment_fixed_size 0
		.amdhsa_kernarg_size 88
		.amdhsa_user_sgpr_count 6
		.amdhsa_user_sgpr_private_segment_buffer 1
		.amdhsa_user_sgpr_dispatch_ptr 0
		.amdhsa_user_sgpr_queue_ptr 0
		.amdhsa_user_sgpr_kernarg_segment_ptr 1
		.amdhsa_user_sgpr_dispatch_id 0
		.amdhsa_user_sgpr_flat_scratch_init 0
		.amdhsa_user_sgpr_private_segment_size 0
		.amdhsa_uses_dynamic_stack 0
		.amdhsa_system_sgpr_private_segment_wavefront_offset 0
		.amdhsa_system_sgpr_workgroup_id_x 1
		.amdhsa_system_sgpr_workgroup_id_y 0
		.amdhsa_system_sgpr_workgroup_id_z 0
		.amdhsa_system_sgpr_workgroup_info 0
		.amdhsa_system_vgpr_workitem_id 0
		.amdhsa_next_free_vgpr 133
		.amdhsa_next_free_sgpr 22
		.amdhsa_reserve_vcc 1
		.amdhsa_reserve_flat_scratch 0
		.amdhsa_float_round_mode_32 0
		.amdhsa_float_round_mode_16_64 0
		.amdhsa_float_denorm_mode_32 3
		.amdhsa_float_denorm_mode_16_64 3
		.amdhsa_dx10_clamp 1
		.amdhsa_ieee_mode 1
		.amdhsa_fp16_overflow 0
		.amdhsa_exception_fp_ieee_invalid_op 0
		.amdhsa_exception_fp_denorm_src 0
		.amdhsa_exception_fp_ieee_div_zero 0
		.amdhsa_exception_fp_ieee_overflow 0
		.amdhsa_exception_fp_ieee_underflow 0
		.amdhsa_exception_fp_ieee_inexact 0
		.amdhsa_exception_int_div_zero 0
	.end_amdhsa_kernel
	.text
.Lfunc_end0:
	.size	fft_rtc_fwd_len910_factors_13_2_7_5_wgs_182_tpt_91_sp_ip_CI_unitstride_sbrr_dirReg, .Lfunc_end0-fft_rtc_fwd_len910_factors_13_2_7_5_wgs_182_tpt_91_sp_ip_CI_unitstride_sbrr_dirReg
                                        ; -- End function
	.section	.AMDGPU.csdata,"",@progbits
; Kernel info:
; codeLenInByte = 7716
; NumSgprs: 26
; NumVgprs: 133
; ScratchSize: 0
; MemoryBound: 0
; FloatMode: 240
; IeeeMode: 1
; LDSByteSize: 0 bytes/workgroup (compile time only)
; SGPRBlocks: 3
; VGPRBlocks: 33
; NumSGPRsForWavesPerEU: 26
; NumVGPRsForWavesPerEU: 133
; Occupancy: 1
; WaveLimiterHint : 1
; COMPUTE_PGM_RSRC2:SCRATCH_EN: 0
; COMPUTE_PGM_RSRC2:USER_SGPR: 6
; COMPUTE_PGM_RSRC2:TRAP_HANDLER: 0
; COMPUTE_PGM_RSRC2:TGID_X_EN: 1
; COMPUTE_PGM_RSRC2:TGID_Y_EN: 0
; COMPUTE_PGM_RSRC2:TGID_Z_EN: 0
; COMPUTE_PGM_RSRC2:TIDIG_COMP_CNT: 0
	.type	__hip_cuid_8fa16cc1e6ad9f07,@object ; @__hip_cuid_8fa16cc1e6ad9f07
	.section	.bss,"aw",@nobits
	.globl	__hip_cuid_8fa16cc1e6ad9f07
__hip_cuid_8fa16cc1e6ad9f07:
	.byte	0                               ; 0x0
	.size	__hip_cuid_8fa16cc1e6ad9f07, 1

	.ident	"AMD clang version 19.0.0git (https://github.com/RadeonOpenCompute/llvm-project roc-6.4.0 25133 c7fe45cf4b819c5991fe208aaa96edf142730f1d)"
	.section	".note.GNU-stack","",@progbits
	.addrsig
	.addrsig_sym __hip_cuid_8fa16cc1e6ad9f07
	.amdgpu_metadata
---
amdhsa.kernels:
  - .args:
      - .actual_access:  read_only
        .address_space:  global
        .offset:         0
        .size:           8
        .value_kind:     global_buffer
      - .offset:         8
        .size:           8
        .value_kind:     by_value
      - .actual_access:  read_only
        .address_space:  global
        .offset:         16
        .size:           8
        .value_kind:     global_buffer
      - .actual_access:  read_only
        .address_space:  global
        .offset:         24
        .size:           8
        .value_kind:     global_buffer
      - .offset:         32
        .size:           8
        .value_kind:     by_value
      - .actual_access:  read_only
        .address_space:  global
        .offset:         40
        .size:           8
        .value_kind:     global_buffer
      - .actual_access:  read_only
        .address_space:  global
        .offset:         48
        .size:           8
        .value_kind:     global_buffer
      - .offset:         56
        .size:           4
        .value_kind:     by_value
      - .actual_access:  read_only
        .address_space:  global
        .offset:         64
        .size:           8
        .value_kind:     global_buffer
      - .actual_access:  read_only
        .address_space:  global
        .offset:         72
        .size:           8
        .value_kind:     global_buffer
      - .address_space:  global
        .offset:         80
        .size:           8
        .value_kind:     global_buffer
    .group_segment_fixed_size: 0
    .kernarg_segment_align: 8
    .kernarg_segment_size: 88
    .language:       OpenCL C
    .language_version:
      - 2
      - 0
    .max_flat_workgroup_size: 182
    .name:           fft_rtc_fwd_len910_factors_13_2_7_5_wgs_182_tpt_91_sp_ip_CI_unitstride_sbrr_dirReg
    .private_segment_fixed_size: 0
    .sgpr_count:     26
    .sgpr_spill_count: 0
    .symbol:         fft_rtc_fwd_len910_factors_13_2_7_5_wgs_182_tpt_91_sp_ip_CI_unitstride_sbrr_dirReg.kd
    .uniform_work_group_size: 1
    .uses_dynamic_stack: false
    .vgpr_count:     133
    .vgpr_spill_count: 0
    .wavefront_size: 64
amdhsa.target:   amdgcn-amd-amdhsa--gfx906
amdhsa.version:
  - 1
  - 2
...

	.end_amdgpu_metadata
